;; amdgpu-corpus repo=ROCm/rocFFT kind=compiled arch=gfx1201 opt=O3
	.text
	.amdgcn_target "amdgcn-amd-amdhsa--gfx1201"
	.amdhsa_code_object_version 6
	.protected	fft_rtc_back_len1323_factors_3_3_3_7_7_wgs_189_tpt_189_half_ip_CI_unitstride_sbrr_dirReg ; -- Begin function fft_rtc_back_len1323_factors_3_3_3_7_7_wgs_189_tpt_189_half_ip_CI_unitstride_sbrr_dirReg
	.globl	fft_rtc_back_len1323_factors_3_3_3_7_7_wgs_189_tpt_189_half_ip_CI_unitstride_sbrr_dirReg
	.p2align	8
	.type	fft_rtc_back_len1323_factors_3_3_3_7_7_wgs_189_tpt_189_half_ip_CI_unitstride_sbrr_dirReg,@function
fft_rtc_back_len1323_factors_3_3_3_7_7_wgs_189_tpt_189_half_ip_CI_unitstride_sbrr_dirReg: ; @fft_rtc_back_len1323_factors_3_3_3_7_7_wgs_189_tpt_189_half_ip_CI_unitstride_sbrr_dirReg
; %bb.0:
	s_clause 0x2
	s_load_b128 s[4:7], s[0:1], 0x0
	s_load_b64 s[8:9], s[0:1], 0x50
	s_load_b64 s[10:11], s[0:1], 0x18
	v_mul_u32_u24_e32 v1, 0x15b, v0
	v_mov_b32_e32 v3, 0
	s_delay_alu instid0(VALU_DEP_2) | instskip(NEXT) | instid1(VALU_DEP_1)
	v_lshrrev_b32_e32 v1, 16, v1
	v_add_nc_u32_e32 v5, ttmp9, v1
	v_mov_b32_e32 v1, 0
	v_mov_b32_e32 v2, 0
	;; [unrolled: 1-line block ×3, first 2 shown]
	s_wait_kmcnt 0x0
	v_cmp_lt_u64_e64 s2, s[6:7], 2
	s_delay_alu instid0(VALU_DEP_1)
	s_and_b32 vcc_lo, exec_lo, s2
	s_cbranch_vccnz .LBB0_8
; %bb.1:
	s_load_b64 s[2:3], s[0:1], 0x10
	v_mov_b32_e32 v1, 0
	v_mov_b32_e32 v2, 0
	s_add_nc_u64 s[12:13], s[10:11], 8
	s_mov_b64 s[14:15], 1
	s_wait_kmcnt 0x0
	s_add_nc_u64 s[16:17], s[2:3], 8
	s_mov_b32 s3, 0
.LBB0_2:                                ; =>This Inner Loop Header: Depth=1
	s_load_b64 s[18:19], s[16:17], 0x0
                                        ; implicit-def: $vgpr7_vgpr8
	s_mov_b32 s2, exec_lo
	s_wait_kmcnt 0x0
	v_or_b32_e32 v4, s19, v6
	s_delay_alu instid0(VALU_DEP_1)
	v_cmpx_ne_u64_e32 0, v[3:4]
	s_wait_alu 0xfffe
	s_xor_b32 s20, exec_lo, s2
	s_cbranch_execz .LBB0_4
; %bb.3:                                ;   in Loop: Header=BB0_2 Depth=1
	s_cvt_f32_u32 s2, s18
	s_cvt_f32_u32 s21, s19
	s_sub_nc_u64 s[24:25], 0, s[18:19]
	s_wait_alu 0xfffe
	s_delay_alu instid0(SALU_CYCLE_1) | instskip(SKIP_1) | instid1(SALU_CYCLE_2)
	s_fmamk_f32 s2, s21, 0x4f800000, s2
	s_wait_alu 0xfffe
	v_s_rcp_f32 s2, s2
	s_delay_alu instid0(TRANS32_DEP_1) | instskip(SKIP_1) | instid1(SALU_CYCLE_2)
	s_mul_f32 s2, s2, 0x5f7ffffc
	s_wait_alu 0xfffe
	s_mul_f32 s21, s2, 0x2f800000
	s_wait_alu 0xfffe
	s_delay_alu instid0(SALU_CYCLE_2) | instskip(SKIP_1) | instid1(SALU_CYCLE_2)
	s_trunc_f32 s21, s21
	s_wait_alu 0xfffe
	s_fmamk_f32 s2, s21, 0xcf800000, s2
	s_cvt_u32_f32 s23, s21
	s_wait_alu 0xfffe
	s_delay_alu instid0(SALU_CYCLE_1) | instskip(SKIP_1) | instid1(SALU_CYCLE_2)
	s_cvt_u32_f32 s22, s2
	s_wait_alu 0xfffe
	s_mul_u64 s[26:27], s[24:25], s[22:23]
	s_wait_alu 0xfffe
	s_mul_hi_u32 s29, s22, s27
	s_mul_i32 s28, s22, s27
	s_mul_hi_u32 s2, s22, s26
	s_mul_i32 s30, s23, s26
	s_wait_alu 0xfffe
	s_add_nc_u64 s[28:29], s[2:3], s[28:29]
	s_mul_hi_u32 s21, s23, s26
	s_mul_hi_u32 s31, s23, s27
	s_add_co_u32 s2, s28, s30
	s_wait_alu 0xfffe
	s_add_co_ci_u32 s2, s29, s21
	s_mul_i32 s26, s23, s27
	s_add_co_ci_u32 s27, s31, 0
	s_wait_alu 0xfffe
	s_add_nc_u64 s[26:27], s[2:3], s[26:27]
	s_wait_alu 0xfffe
	v_add_co_u32 v4, s2, s22, s26
	s_delay_alu instid0(VALU_DEP_1) | instskip(SKIP_1) | instid1(VALU_DEP_1)
	s_cmp_lg_u32 s2, 0
	s_add_co_ci_u32 s23, s23, s27
	v_readfirstlane_b32 s22, v4
	s_wait_alu 0xfffe
	s_delay_alu instid0(VALU_DEP_1)
	s_mul_u64 s[24:25], s[24:25], s[22:23]
	s_wait_alu 0xfffe
	s_mul_hi_u32 s27, s22, s25
	s_mul_i32 s26, s22, s25
	s_mul_hi_u32 s2, s22, s24
	s_mul_i32 s28, s23, s24
	s_wait_alu 0xfffe
	s_add_nc_u64 s[26:27], s[2:3], s[26:27]
	s_mul_hi_u32 s21, s23, s24
	s_mul_hi_u32 s22, s23, s25
	s_wait_alu 0xfffe
	s_add_co_u32 s2, s26, s28
	s_add_co_ci_u32 s2, s27, s21
	s_mul_i32 s24, s23, s25
	s_add_co_ci_u32 s25, s22, 0
	s_wait_alu 0xfffe
	s_add_nc_u64 s[24:25], s[2:3], s[24:25]
	s_wait_alu 0xfffe
	v_add_co_u32 v4, s2, v4, s24
	s_delay_alu instid0(VALU_DEP_1) | instskip(SKIP_1) | instid1(VALU_DEP_1)
	s_cmp_lg_u32 s2, 0
	s_add_co_ci_u32 s2, s23, s25
	v_mul_hi_u32 v13, v5, v4
	s_wait_alu 0xfffe
	v_mad_co_u64_u32 v[7:8], null, v5, s2, 0
	v_mad_co_u64_u32 v[9:10], null, v6, v4, 0
	;; [unrolled: 1-line block ×3, first 2 shown]
	s_delay_alu instid0(VALU_DEP_3) | instskip(SKIP_1) | instid1(VALU_DEP_4)
	v_add_co_u32 v4, vcc_lo, v13, v7
	s_wait_alu 0xfffd
	v_add_co_ci_u32_e32 v7, vcc_lo, 0, v8, vcc_lo
	s_delay_alu instid0(VALU_DEP_2) | instskip(SKIP_1) | instid1(VALU_DEP_2)
	v_add_co_u32 v4, vcc_lo, v4, v9
	s_wait_alu 0xfffd
	v_add_co_ci_u32_e32 v4, vcc_lo, v7, v10, vcc_lo
	s_wait_alu 0xfffd
	v_add_co_ci_u32_e32 v7, vcc_lo, 0, v12, vcc_lo
	s_delay_alu instid0(VALU_DEP_2) | instskip(SKIP_1) | instid1(VALU_DEP_2)
	v_add_co_u32 v4, vcc_lo, v4, v11
	s_wait_alu 0xfffd
	v_add_co_ci_u32_e32 v9, vcc_lo, 0, v7, vcc_lo
	s_delay_alu instid0(VALU_DEP_2) | instskip(SKIP_1) | instid1(VALU_DEP_3)
	v_mul_lo_u32 v10, s19, v4
	v_mad_co_u64_u32 v[7:8], null, s18, v4, 0
	v_mul_lo_u32 v11, s18, v9
	s_delay_alu instid0(VALU_DEP_2) | instskip(NEXT) | instid1(VALU_DEP_2)
	v_sub_co_u32 v7, vcc_lo, v5, v7
	v_add3_u32 v8, v8, v11, v10
	s_delay_alu instid0(VALU_DEP_1) | instskip(SKIP_1) | instid1(VALU_DEP_1)
	v_sub_nc_u32_e32 v10, v6, v8
	s_wait_alu 0xfffd
	v_subrev_co_ci_u32_e64 v10, s2, s19, v10, vcc_lo
	v_add_co_u32 v11, s2, v4, 2
	s_wait_alu 0xf1ff
	v_add_co_ci_u32_e64 v12, s2, 0, v9, s2
	v_sub_co_u32 v13, s2, v7, s18
	v_sub_co_ci_u32_e32 v8, vcc_lo, v6, v8, vcc_lo
	s_wait_alu 0xf1ff
	v_subrev_co_ci_u32_e64 v10, s2, 0, v10, s2
	s_delay_alu instid0(VALU_DEP_3) | instskip(NEXT) | instid1(VALU_DEP_3)
	v_cmp_le_u32_e32 vcc_lo, s18, v13
	v_cmp_eq_u32_e64 s2, s19, v8
	s_wait_alu 0xfffd
	v_cndmask_b32_e64 v13, 0, -1, vcc_lo
	v_cmp_le_u32_e32 vcc_lo, s19, v10
	s_wait_alu 0xfffd
	v_cndmask_b32_e64 v14, 0, -1, vcc_lo
	v_cmp_le_u32_e32 vcc_lo, s18, v7
	;; [unrolled: 3-line block ×3, first 2 shown]
	s_wait_alu 0xfffd
	v_cndmask_b32_e64 v15, 0, -1, vcc_lo
	v_cmp_eq_u32_e32 vcc_lo, s19, v10
	s_wait_alu 0xf1ff
	s_delay_alu instid0(VALU_DEP_2)
	v_cndmask_b32_e64 v7, v15, v7, s2
	s_wait_alu 0xfffd
	v_cndmask_b32_e32 v10, v14, v13, vcc_lo
	v_add_co_u32 v13, vcc_lo, v4, 1
	s_wait_alu 0xfffd
	v_add_co_ci_u32_e32 v14, vcc_lo, 0, v9, vcc_lo
	s_delay_alu instid0(VALU_DEP_3) | instskip(SKIP_2) | instid1(VALU_DEP_3)
	v_cmp_ne_u32_e32 vcc_lo, 0, v10
	s_wait_alu 0xfffd
	v_cndmask_b32_e32 v10, v13, v11, vcc_lo
	v_cndmask_b32_e32 v8, v14, v12, vcc_lo
	v_cmp_ne_u32_e32 vcc_lo, 0, v7
	s_wait_alu 0xfffd
	s_delay_alu instid0(VALU_DEP_2)
	v_dual_cndmask_b32 v7, v4, v10 :: v_dual_cndmask_b32 v8, v9, v8
.LBB0_4:                                ;   in Loop: Header=BB0_2 Depth=1
	s_wait_alu 0xfffe
	s_and_not1_saveexec_b32 s2, s20
	s_cbranch_execz .LBB0_6
; %bb.5:                                ;   in Loop: Header=BB0_2 Depth=1
	v_cvt_f32_u32_e32 v4, s18
	s_sub_co_i32 s20, 0, s18
	s_delay_alu instid0(VALU_DEP_1) | instskip(NEXT) | instid1(TRANS32_DEP_1)
	v_rcp_iflag_f32_e32 v4, v4
	v_mul_f32_e32 v4, 0x4f7ffffe, v4
	s_delay_alu instid0(VALU_DEP_1) | instskip(SKIP_1) | instid1(VALU_DEP_1)
	v_cvt_u32_f32_e32 v4, v4
	s_wait_alu 0xfffe
	v_mul_lo_u32 v7, s20, v4
	s_delay_alu instid0(VALU_DEP_1) | instskip(NEXT) | instid1(VALU_DEP_1)
	v_mul_hi_u32 v7, v4, v7
	v_add_nc_u32_e32 v4, v4, v7
	s_delay_alu instid0(VALU_DEP_1) | instskip(NEXT) | instid1(VALU_DEP_1)
	v_mul_hi_u32 v4, v5, v4
	v_mul_lo_u32 v7, v4, s18
	v_add_nc_u32_e32 v8, 1, v4
	s_delay_alu instid0(VALU_DEP_2) | instskip(NEXT) | instid1(VALU_DEP_1)
	v_sub_nc_u32_e32 v7, v5, v7
	v_subrev_nc_u32_e32 v9, s18, v7
	v_cmp_le_u32_e32 vcc_lo, s18, v7
	s_wait_alu 0xfffd
	s_delay_alu instid0(VALU_DEP_2) | instskip(NEXT) | instid1(VALU_DEP_1)
	v_dual_cndmask_b32 v7, v7, v9 :: v_dual_cndmask_b32 v4, v4, v8
	v_cmp_le_u32_e32 vcc_lo, s18, v7
	s_delay_alu instid0(VALU_DEP_2) | instskip(SKIP_1) | instid1(VALU_DEP_1)
	v_add_nc_u32_e32 v8, 1, v4
	s_wait_alu 0xfffd
	v_dual_cndmask_b32 v7, v4, v8 :: v_dual_mov_b32 v8, v3
.LBB0_6:                                ;   in Loop: Header=BB0_2 Depth=1
	s_wait_alu 0xfffe
	s_or_b32 exec_lo, exec_lo, s2
	s_load_b64 s[20:21], s[12:13], 0x0
	s_delay_alu instid0(VALU_DEP_1)
	v_mul_lo_u32 v4, v8, s18
	v_mul_lo_u32 v11, v7, s19
	v_mad_co_u64_u32 v[9:10], null, v7, s18, 0
	s_add_nc_u64 s[14:15], s[14:15], 1
	s_add_nc_u64 s[12:13], s[12:13], 8
	s_wait_alu 0xfffe
	v_cmp_ge_u64_e64 s2, s[14:15], s[6:7]
	s_add_nc_u64 s[16:17], s[16:17], 8
	s_delay_alu instid0(VALU_DEP_2) | instskip(NEXT) | instid1(VALU_DEP_3)
	v_add3_u32 v4, v10, v11, v4
	v_sub_co_u32 v5, vcc_lo, v5, v9
	s_wait_alu 0xfffd
	s_delay_alu instid0(VALU_DEP_2) | instskip(SKIP_3) | instid1(VALU_DEP_2)
	v_sub_co_ci_u32_e32 v4, vcc_lo, v6, v4, vcc_lo
	s_and_b32 vcc_lo, exec_lo, s2
	s_wait_kmcnt 0x0
	v_mul_lo_u32 v6, s21, v5
	v_mul_lo_u32 v4, s20, v4
	v_mad_co_u64_u32 v[1:2], null, s20, v5, v[1:2]
	s_delay_alu instid0(VALU_DEP_1)
	v_add3_u32 v2, v6, v2, v4
	s_wait_alu 0xfffe
	s_cbranch_vccnz .LBB0_9
; %bb.7:                                ;   in Loop: Header=BB0_2 Depth=1
	v_dual_mov_b32 v5, v7 :: v_dual_mov_b32 v6, v8
	s_branch .LBB0_2
.LBB0_8:
	v_dual_mov_b32 v8, v6 :: v_dual_mov_b32 v7, v5
.LBB0_9:
	s_lshl_b64 s[2:3], s[6:7], 3
	v_mul_hi_u32 v3, 0x15ac057, v0
	s_wait_alu 0xfffe
	s_add_nc_u64 s[2:3], s[10:11], s[2:3]
                                        ; implicit-def: $vgpr11
                                        ; implicit-def: $vgpr13
                                        ; implicit-def: $vgpr14
                                        ; implicit-def: $vgpr12
                                        ; implicit-def: $vgpr6
                                        ; implicit-def: $vgpr10
                                        ; implicit-def: $vgpr9
	s_load_b64 s[2:3], s[2:3], 0x0
	s_load_b64 s[0:1], s[0:1], 0x20
	s_delay_alu instid0(VALU_DEP_1) | instskip(NEXT) | instid1(VALU_DEP_1)
	v_mul_u32_u24_e32 v3, 0xbd, v3
	v_sub_nc_u32_e32 v3, v0, v3
	s_wait_kmcnt 0x0
	v_mul_lo_u32 v4, s2, v8
	v_mul_lo_u32 v5, s3, v7
	v_mad_co_u64_u32 v[1:2], null, s2, v7, v[1:2]
	v_cmp_gt_u64_e32 vcc_lo, s[0:1], v[7:8]
                                        ; implicit-def: $vgpr7
                                        ; implicit-def: $vgpr8
	s_delay_alu instid0(VALU_DEP_2) | instskip(NEXT) | instid1(VALU_DEP_1)
	v_add3_u32 v2, v5, v2, v4
	v_lshlrev_b64_e32 v[0:1], 2, v[1:2]
	v_mov_b32_e32 v2, 0
	s_and_saveexec_b32 s1, vcc_lo
	s_cbranch_execz .LBB0_13
; %bb.10:
	v_mov_b32_e32 v4, 0
	s_delay_alu instid0(VALU_DEP_3) | instskip(SKIP_2) | instid1(VALU_DEP_3)
	v_add_co_u32 v2, s0, s8, v0
	s_wait_alu 0xf1ff
	v_add_co_ci_u32_e64 v6, s0, s9, v1, s0
	v_lshlrev_b64_e32 v[4:5], 2, v[3:4]
	s_mov_b32 s2, exec_lo
                                        ; implicit-def: $vgpr14
                                        ; implicit-def: $vgpr13
                                        ; implicit-def: $vgpr11
	s_delay_alu instid0(VALU_DEP_1) | instskip(SKIP_1) | instid1(VALU_DEP_2)
	v_add_co_u32 v4, s0, v2, v4
	s_wait_alu 0xf1ff
	v_add_co_ci_u32_e64 v5, s0, v6, v5, s0
	s_clause 0x5
	global_load_b32 v7, v[4:5], off
	global_load_b32 v6, v[4:5], off offset:4284
	global_load_b32 v8, v[4:5], off offset:3528
	;; [unrolled: 1-line block ×5, first 2 shown]
	v_cmpx_gt_u32_e32 63, v3
; %bb.11:
	s_clause 0x2
	global_load_b32 v14, v[4:5], off offset:1512
	global_load_b32 v13, v[4:5], off offset:3276
	;; [unrolled: 1-line block ×3, first 2 shown]
; %bb.12:
	s_wait_alu 0xfffe
	s_or_b32 exec_lo, exec_lo, s2
	v_mov_b32_e32 v2, v3
.LBB0_13:
	s_wait_alu 0xfffe
	s_or_b32 exec_lo, exec_lo, s1
	s_wait_loadcnt 0x0
	v_pk_add_f16 v4, v11, v13
	v_pk_add_f16 v5, v13, v11 neg_lo:[0,1] neg_hi:[0,1]
	v_pk_add_f16 v15, v13, v14
	v_pk_add_f16 v16, v12, v8 neg_lo:[0,1] neg_hi:[0,1]
	v_pk_add_f16 v19, v6, v9
	v_pk_fma_f16 v4, v4, 0.5, v14 op_sel_hi:[1,0,1] neg_lo:[1,0,0] neg_hi:[1,0,0]
	v_pk_add_f16 v14, v12, v8
	v_pk_mul_f16 v5, 0x3aee, v5 op_sel_hi:[0,1]
	v_pk_add_f16 v21, v9, v6 neg_lo:[0,1] neg_hi:[0,1]
	v_pk_add_f16 v11, v11, v15
	v_pk_mul_f16 v15, 0x3aee, v16 op_sel_hi:[0,1]
	v_pk_fma_f16 v14, v14, 0.5, v7 op_sel_hi:[1,0,1] neg_lo:[1,0,0] neg_hi:[1,0,0]
	v_pk_add_f16 v17, v4, v5 op_sel:[0,1] op_sel_hi:[1,0] neg_lo:[0,1] neg_hi:[0,1]
	v_pk_add_f16 v18, v5, v4 op_sel:[1,0] op_sel_hi:[0,1]
	v_pk_add_f16 v4, v7, v12
	v_pk_fma_f16 v5, v19, 0.5, v10 op_sel_hi:[1,0,1] neg_lo:[1,0,0] neg_hi:[1,0,0]
	v_pk_mul_f16 v7, 0x3aee, v21 op_sel_hi:[0,1]
	v_pk_add_f16 v12, v14, v15 op_sel:[0,1] op_sel_hi:[1,0] neg_lo:[0,1] neg_hi:[0,1]
	v_pk_add_f16 v14, v14, v15 op_sel:[0,1] op_sel_hi:[1,0]
	v_mad_u32_u24 v13, v3, 12, 0
	v_pk_add_f16 v4, v4, v8
	v_pk_add_f16 v8, v10, v9
	v_pk_add_f16 v9, v5, v7 op_sel:[0,1] op_sel_hi:[1,0] neg_lo:[0,1] neg_hi:[0,1]
	v_pk_add_f16 v5, v5, v7 op_sel:[0,1] op_sel_hi:[1,0]
	v_lshrrev_b32_e32 v20, 16, v17
	v_bfi_b32 v7, 0xffff, v12, v14
	v_cmp_gt_u32_e64 s0, 63, v3
	v_bfi_b32 v10, 0xffff, v14, v12
	v_add_nc_u32_e32 v12, 0x8dc, v13
	v_pk_add_f16 v6, v6, v8
	v_bfi_b32 v8, 0xffff, v9, v5
	v_bfi_b32 v5, 0xffff, v5, v9
	ds_store_2addr_b32 v13, v4, v7 offset1:1
	ds_store_b32 v13, v10 offset:8
	ds_store_2addr_b32 v12, v6, v8 offset1:1
	ds_store_b32 v13, v5 offset:2276
	s_and_saveexec_b32 s1, s0
	s_cbranch_execz .LBB0_15
; %bb.14:
	v_bfi_b32 v4, 0xffff, v17, v18
	v_add_nc_u32_e32 v5, 0x11b8, v13
	v_perm_b32 v6, v20, v18, 0x5040100
	ds_store_2addr_b32 v5, v11, v4 offset1:1
	ds_store_b32 v13, v6 offset:4544
.LBB0_15:
	s_wait_alu 0xfffe
	s_or_b32 exec_lo, exec_lo, s1
	v_lshlrev_b32_e32 v10, 3, v3
	global_wb scope:SCOPE_SE
	s_wait_dscnt 0x0
	s_barrier_signal -1
	s_barrier_wait -1
	global_inv scope:SCOPE_SE
	v_sub_nc_u32_e32 v6, v13, v10
	v_sub_nc_u32_e32 v10, 0, v10
	v_lshrrev_b32_e32 v21, 16, v18
	s_delay_alu instid0(VALU_DEP_3) | instskip(SKIP_1) | instid1(VALU_DEP_4)
	v_add_nc_u32_e32 v7, 0x600, v6
	v_add_nc_u32_e32 v12, 0xd00, v6
	;; [unrolled: 1-line block ×3, first 2 shown]
	ds_load_2addr_b32 v[4:5], v6 offset1:189
	ds_load_u16 v23, v6 offset:2
	ds_load_2addr_b32 v[8:9], v7 offset0:57 offset1:246
	ds_load_2addr_b32 v[6:7], v12 offset0:50 offset1:239
	s_and_saveexec_b32 s1, s0
	s_cbranch_execz .LBB0_17
; %bb.16:
	ds_load_b32 v17, v10 offset:3276
	ds_load_b32 v18, v10 offset:5040
	;; [unrolled: 1-line block ×3, first 2 shown]
	s_wait_dscnt 0x2
	v_lshrrev_b32_e32 v21, 16, v17
	s_wait_dscnt 0x1
	v_lshrrev_b32_e32 v20, 16, v18
.LBB0_17:
	s_wait_alu 0xfffe
	s_or_b32 exec_lo, exec_lo, s1
	v_and_b32_e32 v12, 0xff, v3
	v_add_nc_u32_e32 v16, 0xbd, v3
	v_add_nc_u32_e32 v13, 0x17a, v3
	s_wait_dscnt 0x1
	v_lshrrev_b32_e32 v35, 16, v8
	s_wait_dscnt 0x0
	v_lshrrev_b32_e32 v36, 16, v6
	v_mul_lo_u16 v14, 0xab, v12
	v_and_b32_e32 v19, 0xffff, v16
	v_lshrrev_b32_e32 v38, 16, v9
	v_lshrrev_b32_e32 v39, 16, v7
	;; [unrolled: 1-line block ×3, first 2 shown]
	v_lshrrev_b16 v15, 9, v14
	v_and_b32_e32 v14, 0xffff, v13
	v_mul_u32_u24_e32 v22, 0xaaab, v19
	s_delay_alu instid0(VALU_DEP_3) | instskip(NEXT) | instid1(VALU_DEP_3)
	v_mul_lo_u16 v24, v15, 3
	v_mul_u32_u24_e32 v25, 0xaaab, v14
	s_delay_alu instid0(VALU_DEP_3) | instskip(SKIP_1) | instid1(VALU_DEP_4)
	v_lshrrev_b32_e32 v22, 17, v22
	v_and_b32_e32 v15, 0xffff, v15
	v_sub_nc_u16 v26, v3, v24
	s_delay_alu instid0(VALU_DEP_4) | instskip(NEXT) | instid1(VALU_DEP_4)
	v_lshrrev_b32_e32 v24, 17, v25
	v_mul_lo_u16 v25, v22, 3
	s_delay_alu instid0(VALU_DEP_4)
	v_mul_u32_u24_e32 v37, 36, v15
	v_mul_u32_u24_e32 v22, 36, v22
	v_and_b32_e32 v32, 0xff, v26
	v_mul_lo_u16 v26, v24, 3
	v_sub_nc_u16 v25, v16, v25
	v_lshrrev_b32_e32 v15, 16, v11
	s_delay_alu instid0(VALU_DEP_4) | instskip(NEXT) | instid1(VALU_DEP_4)
	v_lshlrev_b32_e32 v27, 3, v32
	v_sub_nc_u16 v28, v13, v26
	s_delay_alu instid0(VALU_DEP_4)
	v_and_b32_e32 v33, 0xffff, v25
	v_lshlrev_b32_e32 v32, 2, v32
	global_load_b64 v[26:27], v27, s[4:5]
	v_and_b32_e32 v25, 0xffff, v28
	v_lshlrev_b32_e32 v28, 3, v33
	v_add3_u32 v32, 0, v37, v32
	v_lshlrev_b32_e32 v33, 2, v33
	s_delay_alu instid0(VALU_DEP_4)
	v_lshlrev_b32_e32 v30, 3, v25
	s_clause 0x1
	global_load_b64 v[28:29], v28, s[4:5]
	global_load_b64 v[30:31], v30, s[4:5]
	v_add3_u32 v33, 0, v22, v33
	global_wb scope:SCOPE_SE
	s_wait_loadcnt 0x0
	s_barrier_signal -1
	s_barrier_wait -1
	global_inv scope:SCOPE_SE
	v_lshrrev_b32_e32 v37, 16, v26
	v_lshrrev_b32_e32 v40, 16, v27
	s_delay_alu instid0(VALU_DEP_2) | instskip(SKIP_1) | instid1(VALU_DEP_3)
	v_mul_f16_e32 v22, v37, v35
	v_mul_f16_e32 v37, v37, v8
	;; [unrolled: 1-line block ×4, first 2 shown]
	v_lshrrev_b32_e32 v42, 16, v28
	v_lshrrev_b32_e32 v43, 16, v29
	;; [unrolled: 1-line block ×4, first 2 shown]
	v_fmac_f16_e32 v22, v26, v8
	v_fma_f16 v8, v26, v35, -v37
	v_fmac_f16_e32 v41, v27, v6
	v_fma_f16 v6, v27, v36, -v40
	v_mul_f16_e32 v26, v42, v38
	v_mul_f16_e32 v27, v42, v9
	v_mul_f16_e32 v35, v43, v39
	v_mul_f16_e32 v36, v43, v7
	v_mul_f16_e32 v37, v21, v44
	v_mul_f16_e32 v40, v17, v44
	v_mul_f16_e32 v42, v20, v45
	v_mul_f16_e32 v43, v18, v45
	v_fmac_f16_e32 v26, v28, v9
	v_fma_f16 v9, v28, v38, -v27
	v_fmac_f16_e32 v35, v29, v7
	v_fma_f16 v7, v29, v39, -v36
	;; [unrolled: 2-line block ×4, first 2 shown]
	v_add_f16_e32 v20, v22, v4
	v_add_f16_e32 v21, v22, v41
	;; [unrolled: 1-line block ×3, first 2 shown]
	v_sub_f16_e32 v27, v8, v6
	v_add_f16_e32 v8, v8, v6
	v_add_f16_e32 v29, v20, v41
	v_fma_f16 v4, -0.5, v21, v4
	v_add_f16_e32 v6, v28, v6
	v_add_f16_e32 v20, v26, v35
	v_sub_f16_e32 v21, v9, v7
	v_add_f16_e32 v28, v34, v9
	v_add_f16_e32 v9, v9, v7
	v_sub_f16_e32 v22, v22, v41
	v_fmac_f16_e32 v23, -0.5, v8
	v_add_f16_e32 v31, v37, v42
	v_add_f16_e32 v39, v17, v18
	;; [unrolled: 1-line block ×3, first 2 shown]
	v_sub_f16_e32 v26, v26, v35
	v_fmac_f16_e32 v5, -0.5, v20
	v_fmac_f16_e32 v34, -0.5, v9
	v_add_f16_e32 v30, v11, v37
	v_sub_f16_e32 v36, v17, v18
	v_add_f16_e32 v38, v15, v17
	v_sub_f16_e32 v37, v37, v42
	v_fmamk_f16 v40, v27, 0xbaee, v4
	v_fmac_f16_e32 v4, 0x3aee, v27
	v_fmamk_f16 v27, v22, 0x3aee, v23
	v_fma_f16 v20, -0.5, v31, v11
	v_fmac_f16_e32 v15, -0.5, v39
	v_fmac_f16_e32 v23, 0xbaee, v22
	v_add_f16_e32 v8, v8, v35
	v_add_f16_e32 v7, v28, v7
	v_fmamk_f16 v9, v21, 0xbaee, v5
	v_fmamk_f16 v11, v26, 0x3aee, v34
	v_fmac_f16_e32 v5, 0x3aee, v21
	v_fmac_f16_e32 v34, 0xbaee, v26
	v_add_f16_e32 v17, v30, v42
	v_add_f16_e32 v18, v38, v18
	v_pack_b32_f16 v6, v29, v6
	v_fmamk_f16 v21, v36, 0xbaee, v20
	v_fmac_f16_e32 v20, 0x3aee, v36
	v_fmamk_f16 v22, v37, 0x3aee, v15
	v_pack_b32_f16 v26, v40, v27
	v_fmac_f16_e32 v15, 0xbaee, v37
	v_pack_b32_f16 v4, v4, v23
	v_pack_b32_f16 v7, v8, v7
	;; [unrolled: 1-line block ×4, first 2 shown]
	ds_store_2addr_b32 v32, v6, v26 offset1:3
	ds_store_b32 v32, v4 offset:24
	ds_store_2addr_b32 v33, v7, v8 offset1:3
	ds_store_b32 v33, v5 offset:24
	s_and_saveexec_b32 s1, s0
	s_cbranch_execz .LBB0_19
; %bb.18:
	v_mul_lo_u16 v4, v24, 9
	v_lshlrev_b32_e32 v5, 2, v25
	v_perm_b32 v6, v18, v17, 0x5040100
	v_perm_b32 v7, v22, v21, 0x5040100
	s_delay_alu instid0(VALU_DEP_4) | instskip(NEXT) | instid1(VALU_DEP_1)
	v_and_b32_e32 v4, 0xffff, v4
	v_lshlrev_b32_e32 v4, 2, v4
	s_delay_alu instid0(VALU_DEP_1)
	v_add3_u32 v4, 0, v5, v4
	v_perm_b32 v5, v15, v20, 0x5040100
	ds_store_2addr_b32 v4, v6, v7 offset1:3
	ds_store_b32 v4, v5 offset:24
.LBB0_19:
	s_wait_alu 0xfffe
	s_or_b32 exec_lo, exec_lo, s1
	v_add_nc_u32_e32 v6, 0x600, v10
	v_add_nc_u32_e32 v7, 0xd00, v10
	global_wb scope:SCOPE_SE
	s_wait_dscnt 0x0
	s_barrier_signal -1
	s_barrier_wait -1
	global_inv scope:SCOPE_SE
	ds_load_2addr_b32 v[4:5], v10 offset1:189
	ds_load_2addr_b32 v[8:9], v6 offset0:57 offset1:246
	ds_load_2addr_b32 v[6:7], v7 offset0:50 offset1:239
	v_lshl_add_u32 v11, v3, 2, 0
	s_and_saveexec_b32 s1, s0
	s_cbranch_execz .LBB0_21
; %bb.20:
	ds_load_b32 v17, v11 offset:1512
	ds_load_b32 v21, v10 offset:3276
	;; [unrolled: 1-line block ×3, first 2 shown]
	s_wait_dscnt 0x2
	v_lshrrev_b32_e32 v18, 16, v17
	s_wait_dscnt 0x1
	v_lshrrev_b32_e32 v22, 16, v21
	;; [unrolled: 2-line block ×3, first 2 shown]
.LBB0_21:
	s_wait_alu 0xfffe
	s_or_b32 exec_lo, exec_lo, s1
	v_mul_lo_u16 v23, v12, 57
	v_mul_u32_u24_e32 v19, 0xe38f, v19
	s_wait_dscnt 0x1
	v_lshrrev_b32_e32 v30, 16, v8
	s_wait_dscnt 0x0
	v_lshrrev_b32_e32 v31, 16, v6
	v_lshrrev_b32_e32 v32, 16, v9
	v_lshrrev_b16 v27, 9, v23
	v_lshrrev_b32_e32 v19, 19, v19
	v_lshrrev_b32_e32 v33, 16, v7
	;; [unrolled: 1-line block ×4, first 2 shown]
	v_mul_lo_u16 v23, v27, 9
	v_mul_lo_u16 v24, v19, 9
	v_and_b32_e32 v27, 0xffff, v27
	v_mul_u32_u24_e32 v19, 0x6c, v19
	s_delay_alu instid0(VALU_DEP_4) | instskip(NEXT) | instid1(VALU_DEP_4)
	v_sub_nc_u16 v23, v3, v23
	v_sub_nc_u16 v16, v16, v24
	s_delay_alu instid0(VALU_DEP_4) | instskip(NEXT) | instid1(VALU_DEP_3)
	v_mul_u32_u24_e32 v27, 0x6c, v27
	v_and_b32_e32 v28, 0xff, v23
	s_delay_alu instid0(VALU_DEP_3) | instskip(NEXT) | instid1(VALU_DEP_2)
	v_and_b32_e32 v16, 0xffff, v16
	v_lshlrev_b32_e32 v23, 3, v28
	s_delay_alu instid0(VALU_DEP_2)
	v_lshlrev_b32_e32 v25, 3, v16
	v_lshlrev_b32_e32 v28, 2, v28
	;; [unrolled: 1-line block ×3, first 2 shown]
	s_clause 0x1
	global_load_b64 v[23:24], v23, s[4:5] offset:24
	global_load_b64 v[25:26], v25, s[4:5] offset:24
	global_wb scope:SCOPE_SE
	s_wait_loadcnt 0x0
	v_add3_u32 v27, 0, v27, v28
	v_add3_u32 v16, 0, v19, v16
	s_barrier_signal -1
	s_barrier_wait -1
	global_inv scope:SCOPE_SE
	v_lshrrev_b32_e32 v28, 16, v23
	v_lshrrev_b32_e32 v19, 16, v24
	;; [unrolled: 1-line block ×4, first 2 shown]
	s_delay_alu instid0(VALU_DEP_4)
	v_mul_f16_e32 v37, v28, v30
	v_mul_f16_e32 v28, v28, v8
	;; [unrolled: 1-line block ×8, first 2 shown]
	v_fmac_f16_e32 v37, v23, v8
	v_fma_f16 v8, v23, v30, -v28
	v_fmac_f16_e32 v38, v24, v6
	v_fma_f16 v6, v24, v31, -v19
	;; [unrolled: 2-line block ×4, first 2 shown]
	v_add_f16_e32 v23, v37, v38
	v_sub_f16_e32 v24, v8, v6
	v_add_f16_e32 v25, v8, v34
	v_add_f16_e32 v8, v8, v6
	;; [unrolled: 1-line block ×3, first 2 shown]
	v_sub_f16_e32 v31, v9, v7
	v_add_f16_e32 v32, v29, v9
	v_add_f16_e32 v9, v9, v7
	;; [unrolled: 1-line block ×3, first 2 shown]
	v_sub_f16_e32 v26, v37, v38
	v_add_f16_e32 v28, v5, v39
	v_fma_f16 v4, -0.5, v23, v4
	v_fmac_f16_e32 v34, -0.5, v8
	v_sub_f16_e32 v33, v39, v40
	v_fmac_f16_e32 v5, -0.5, v30
	v_fmac_f16_e32 v29, -0.5, v9
	v_add_f16_e32 v19, v19, v38
	v_add_f16_e32 v6, v25, v6
	;; [unrolled: 1-line block ×4, first 2 shown]
	v_fmamk_f16 v9, v24, 0xbaee, v4
	v_fmamk_f16 v23, v26, 0x3aee, v34
	v_fmac_f16_e32 v4, 0x3aee, v24
	v_fmac_f16_e32 v34, 0xbaee, v26
	v_fmamk_f16 v24, v31, 0xbaee, v5
	v_fmamk_f16 v25, v33, 0x3aee, v29
	v_fmac_f16_e32 v5, 0x3aee, v31
	v_fmac_f16_e32 v29, 0xbaee, v33
	v_pack_b32_f16 v6, v19, v6
	v_pack_b32_f16 v7, v8, v7
	v_pack_b32_f16 v8, v9, v23
	v_pack_b32_f16 v4, v4, v34
	v_pack_b32_f16 v9, v24, v25
	v_pack_b32_f16 v5, v5, v29
	ds_store_2addr_b32 v27, v6, v8 offset1:9
	ds_store_b32 v27, v4 offset:72
	ds_store_2addr_b32 v16, v7, v9 offset1:9
	ds_store_b32 v16, v5 offset:72
	s_and_saveexec_b32 s1, s0
	s_cbranch_execz .LBB0_23
; %bb.22:
	v_mul_u32_u24_e32 v4, 0xe38f, v14
	s_delay_alu instid0(VALU_DEP_1) | instskip(NEXT) | instid1(VALU_DEP_1)
	v_lshrrev_b32_e32 v6, 19, v4
	v_mul_lo_u16 v4, v6, 9
	v_mul_lo_u16 v6, v6, 27
	s_delay_alu instid0(VALU_DEP_2) | instskip(NEXT) | instid1(VALU_DEP_2)
	v_sub_nc_u16 v4, v13, v4
	v_and_b32_e32 v6, 0xffff, v6
	s_delay_alu instid0(VALU_DEP_2) | instskip(NEXT) | instid1(VALU_DEP_1)
	v_and_b32_e32 v7, 0xffff, v4
	v_lshlrev_b32_e32 v4, 3, v7
	global_load_b64 v[4:5], v4, s[4:5] offset:24
	s_wait_loadcnt 0x0
	v_lshrrev_b32_e32 v8, 16, v4
	v_lshrrev_b32_e32 v9, 16, v5
	s_delay_alu instid0(VALU_DEP_2) | instskip(NEXT) | instid1(VALU_DEP_2)
	v_mul_f16_e32 v13, v21, v8
	v_mul_f16_e32 v14, v20, v9
	;; [unrolled: 1-line block ×4, first 2 shown]
	s_delay_alu instid0(VALU_DEP_4) | instskip(NEXT) | instid1(VALU_DEP_4)
	v_fma_f16 v13, v22, v4, -v13
	v_fma_f16 v14, v15, v5, -v14
	s_delay_alu instid0(VALU_DEP_4) | instskip(NEXT) | instid1(VALU_DEP_4)
	v_fmac_f16_e32 v8, v21, v4
	v_fmac_f16_e32 v9, v20, v5
	v_lshlrev_b32_e32 v4, 2, v6
	v_lshlrev_b32_e32 v5, 2, v7
	v_add_f16_e32 v6, v13, v14
	v_add_f16_e32 v16, v18, v13
	;; [unrolled: 1-line block ×3, first 2 shown]
	v_sub_f16_e32 v7, v8, v9
	v_add_f16_e32 v8, v17, v8
	v_fma_f16 v6, -0.5, v6, v18
	v_sub_f16_e32 v13, v13, v14
	v_fma_f16 v15, -0.5, v15, v17
	v_add_f16_e32 v14, v16, v14
	v_add_f16_e32 v8, v8, v9
	v_fmamk_f16 v9, v7, 0xbaee, v6
	v_fmac_f16_e32 v6, 0x3aee, v7
	v_fmamk_f16 v7, v13, 0x3aee, v15
	v_fmac_f16_e32 v15, 0xbaee, v13
	v_add3_u32 v4, 0, v5, v4
	v_pack_b32_f16 v5, v8, v14
	s_delay_alu instid0(VALU_DEP_4) | instskip(NEXT) | instid1(VALU_DEP_4)
	v_pack_b32_f16 v7, v7, v9
	v_pack_b32_f16 v6, v15, v6
	ds_store_2addr_b32 v4, v5, v6 offset1:9
	ds_store_b32 v4, v7 offset:72
.LBB0_23:
	s_wait_alu 0xfffe
	s_or_b32 exec_lo, exec_lo, s1
	v_mul_lo_u16 v4, v12, 19
	global_wb scope:SCOPE_SE
	s_wait_dscnt 0x0
	s_barrier_signal -1
	s_barrier_wait -1
	global_inv scope:SCOPE_SE
	v_lshrrev_b16 v20, 9, v4
	v_add_nc_u32_e32 v5, 0xe00, v10
	s_delay_alu instid0(VALU_DEP_2) | instskip(SKIP_1) | instid1(VALU_DEP_2)
	v_mul_lo_u16 v4, v20, 27
	v_and_b32_e32 v20, 0xffff, v20
	v_sub_nc_u16 v4, v3, v4
	s_delay_alu instid0(VALU_DEP_2) | instskip(NEXT) | instid1(VALU_DEP_2)
	v_mul_u32_u24_e32 v20, 0x2f4, v20
	v_and_b32_e32 v21, 0xff, v4
	s_delay_alu instid0(VALU_DEP_1) | instskip(SKIP_1) | instid1(VALU_DEP_2)
	v_mul_u32_u24_e32 v4, 6, v21
	v_lshlrev_b32_e32 v21, 2, v21
	v_lshlrev_b32_e32 v4, 2, v4
	s_delay_alu instid0(VALU_DEP_2)
	v_add3_u32 v20, 0, v20, v21
	s_clause 0x1
	global_load_b128 v[6:9], v4, s[4:5] offset:96
	global_load_b64 v[12:13], v4, s[4:5] offset:112
	v_add_nc_u32_e32 v4, 0x800, v10
	ds_load_2addr_b32 v[14:15], v10 offset1:189
	ds_load_b32 v22, v11 offset:1512
	ds_load_2addr_b32 v[16:17], v4 offset0:55 offset1:244
	ds_load_2addr_b32 v[18:19], v5 offset0:49 offset1:238
	global_wb scope:SCOPE_SE
	s_wait_loadcnt_dscnt 0x0
	s_barrier_signal -1
	s_barrier_wait -1
	global_inv scope:SCOPE_SE
	v_lshrrev_b32_e32 v23, 16, v15
	v_lshrrev_b32_e32 v24, 16, v22
	;; [unrolled: 1-line block ×13, first 2 shown]
	v_mul_f16_e32 v35, v21, v23
	v_mul_f16_e32 v21, v21, v15
	;; [unrolled: 1-line block ×12, first 2 shown]
	v_fmac_f16_e32 v35, v6, v15
	v_fma_f16 v6, v6, v23, -v21
	v_fmac_f16_e32 v36, v7, v22
	v_fma_f16 v7, v7, v24, -v30
	;; [unrolled: 2-line block ×6, first 2 shown]
	v_add_f16_e32 v15, v35, v40
	v_add_f16_e32 v16, v6, v13
	v_sub_f16_e32 v6, v6, v13
	v_add_f16_e32 v13, v36, v39
	v_add_f16_e32 v18, v7, v12
	v_sub_f16_e32 v19, v36, v39
	v_sub_f16_e32 v7, v7, v12
	v_add_f16_e32 v12, v37, v38
	v_add_f16_e32 v21, v8, v9
	v_sub_f16_e32 v22, v38, v37
	;; [unrolled: 4-line block ×3, first 2 shown]
	v_sub_f16_e32 v24, v13, v15
	v_sub_f16_e32 v26, v18, v16
	;; [unrolled: 1-line block ×6, first 2 shown]
	v_add_f16_e32 v27, v22, v19
	v_add_f16_e32 v28, v8, v7
	v_sub_f16_e32 v29, v22, v19
	v_sub_f16_e32 v30, v8, v7
	;; [unrolled: 1-line block ×3, first 2 shown]
	v_add_f16_e32 v9, v12, v9
	v_add_f16_e32 v12, v21, v23
	v_sub_f16_e32 v19, v19, v17
	v_sub_f16_e32 v22, v17, v22
	;; [unrolled: 1-line block ×3, first 2 shown]
	v_add_f16_e32 v17, v27, v17
	v_add_f16_e32 v6, v28, v6
	v_mul_f16_e32 v15, 0x3a52, v15
	v_mul_f16_e32 v16, 0x3a52, v16
	v_mul_f16_e32 v21, 0x2b26, v13
	v_mul_f16_e32 v23, 0x2b26, v18
	v_mul_f16_e32 v27, 0x3846, v29
	v_mul_f16_e32 v28, 0x3846, v30
	v_mul_f16_e32 v30, 0xbb00, v7
	v_add_f16_e32 v14, v9, v14
	v_add_f16_e32 v25, v12, v25
	v_mul_f16_e32 v29, 0xbb00, v19
	v_fmamk_f16 v13, v13, 0x2b26, v15
	v_fmamk_f16 v18, v18, 0x2b26, v16
	v_fma_f16 v21, v24, 0x39e0, -v21
	v_fma_f16 v23, v26, 0x39e0, -v23
	;; [unrolled: 1-line block ×4, first 2 shown]
	v_fmamk_f16 v24, v22, 0xb574, v27
	v_fmamk_f16 v26, v8, 0xb574, v28
	v_fma_f16 v7, v7, 0xbb00, -v28
	v_fma_f16 v8, v8, 0x3574, -v30
	v_fmamk_f16 v9, v9, 0xbcab, v14
	v_fmamk_f16 v12, v12, 0xbcab, v25
	v_fma_f16 v19, v19, 0xbb00, -v27
	v_fma_f16 v22, v22, 0x3574, -v29
	v_fmac_f16_e32 v24, 0xb70e, v17
	v_fmac_f16_e32 v26, 0xb70e, v6
	;; [unrolled: 1-line block ×4, first 2 shown]
	v_pack_b32_f16 v6, v14, v25
	v_add_f16_e32 v13, v13, v9
	v_add_f16_e32 v14, v18, v12
	v_fmac_f16_e32 v19, 0xb70e, v17
	v_fmac_f16_e32 v22, 0xb70e, v17
	v_add_f16_e32 v17, v21, v9
	v_add_f16_e32 v9, v15, v9
	;; [unrolled: 1-line block ×5, first 2 shown]
	v_sub_f16_e32 v18, v14, v24
	v_add_f16_e32 v21, v8, v9
	v_sub_f16_e32 v23, v15, v22
	v_sub_f16_e32 v25, v17, v7
	v_add_f16_e32 v27, v19, v12
	v_add_f16_e32 v7, v7, v17
	v_sub_f16_e32 v12, v12, v19
	v_sub_f16_e32 v8, v9, v8
	v_add_f16_e32 v9, v22, v15
	v_sub_f16_e32 v13, v13, v26
	v_add_f16_e32 v14, v24, v14
	v_pack_b32_f16 v15, v16, v18
	v_pack_b32_f16 v16, v21, v23
	;; [unrolled: 1-line block ×6, first 2 shown]
	ds_store_2addr_b32 v20, v6, v15 offset1:27
	ds_store_2addr_b32 v20, v16, v17 offset0:54 offset1:81
	ds_store_2addr_b32 v20, v7, v8 offset0:108 offset1:135
	ds_store_b32 v20, v9 offset:648
	global_wb scope:SCOPE_SE
	s_wait_dscnt 0x0
	s_barrier_signal -1
	s_barrier_wait -1
	global_inv scope:SCOPE_SE
	s_and_saveexec_b32 s0, vcc_lo
	s_cbranch_execz .LBB0_25
; %bb.24:
	v_mul_u32_u24_e32 v3, 6, v3
	v_add_co_u32 v0, vcc_lo, s8, v0
	s_wait_alu 0xfffd
	v_add_co_ci_u32_e32 v1, vcc_lo, s9, v1, vcc_lo
	s_delay_alu instid0(VALU_DEP_3)
	v_lshlrev_b32_e32 v3, 2, v3
	s_clause 0x1
	global_load_b128 v[6:9], v3, s[4:5] offset:744
	global_load_b64 v[12:13], v3, s[4:5] offset:760
	ds_load_2addr_b32 v[14:15], v10 offset1:189
	ds_load_2addr_b32 v[16:17], v5 offset0:49 offset1:238
	ds_load_2addr_b32 v[4:5], v4 offset0:55 offset1:244
	ds_load_b32 v10, v11 offset:1512
	v_mov_b32_e32 v3, 0
	s_delay_alu instid0(VALU_DEP_1) | instskip(NEXT) | instid1(VALU_DEP_1)
	v_lshlrev_b64_e32 v[2:3], 2, v[2:3]
	v_add_co_u32 v0, vcc_lo, v0, v2
	s_wait_alu 0xfffd
	s_delay_alu instid0(VALU_DEP_2)
	v_add_co_ci_u32_e32 v1, vcc_lo, v1, v3, vcc_lo
	s_wait_dscnt 0x3
	v_lshrrev_b32_e32 v2, 16, v15
	s_wait_dscnt 0x2
	v_lshrrev_b32_e32 v3, 16, v17
	v_lshrrev_b32_e32 v20, 16, v16
	s_wait_dscnt 0x0
	v_lshrrev_b32_e32 v19, 16, v10
	v_lshrrev_b32_e32 v11, 16, v5
	;; [unrolled: 1-line block ×4, first 2 shown]
	s_wait_loadcnt 0x1
	v_lshrrev_b32_e32 v22, 16, v6
	v_lshrrev_b32_e32 v23, 16, v7
	s_wait_loadcnt 0x0
	v_lshrrev_b32_e32 v24, 16, v13
	v_lshrrev_b32_e32 v27, 16, v12
	;; [unrolled: 1-line block ×4, first 2 shown]
	v_mul_f16_e32 v28, v22, v2
	v_mul_f16_e32 v29, v24, v3
	;; [unrolled: 1-line block ×12, first 2 shown]
	v_fmac_f16_e32 v28, v6, v15
	v_fmac_f16_e32 v29, v13, v17
	;; [unrolled: 1-line block ×4, first 2 shown]
	v_fma_f16 v3, v13, v3, -v24
	v_fma_f16 v2, v6, v2, -v22
	;; [unrolled: 1-line block ×4, first 2 shown]
	v_fmac_f16_e32 v30, v9, v5
	v_fmac_f16_e32 v31, v8, v4
	v_fma_f16 v4, v8, v18, -v26
	v_fma_f16 v5, v9, v11, -v25
	v_add_f16_e32 v11, v2, v3
	v_add_f16_e32 v13, v7, v6
	;; [unrolled: 1-line block ×4, first 2 shown]
	v_sub_f16_e32 v8, v28, v29
	v_sub_f16_e32 v9, v30, v31
	;; [unrolled: 1-line block ×3, first 2 shown]
	v_add_f16_e32 v12, v5, v4
	v_add_f16_e32 v16, v30, v31
	v_sub_f16_e32 v2, v2, v3
	v_sub_f16_e32 v3, v5, v4
	;; [unrolled: 1-line block ×3, first 2 shown]
	v_add_f16_e32 v19, v11, v13
	v_add_f16_e32 v23, v15, v17
	v_sub_f16_e32 v5, v8, v9
	v_sub_f16_e32 v6, v9, v10
	v_add_f16_e32 v7, v9, v10
	v_sub_f16_e32 v9, v11, v12
	v_sub_f16_e32 v18, v12, v13
	;; [unrolled: 1-line block ×6, first 2 shown]
	v_add_f16_e32 v3, v3, v4
	v_sub_f16_e32 v10, v10, v8
	v_add_f16_e32 v12, v12, v19
	v_add_f16_e32 v16, v16, v23
	v_sub_f16_e32 v4, v4, v2
	v_sub_f16_e32 v11, v13, v11
	;; [unrolled: 1-line block ×3, first 2 shown]
	v_mul_f16_e32 v6, 0x3846, v6
	v_add_f16_e32 v7, v8, v7
	v_mul_f16_e32 v8, 0x3a52, v9
	v_mul_f16_e32 v15, 0x2b26, v18
	;; [unrolled: 1-line block ×5, first 2 shown]
	v_add_f16_e32 v2, v2, v3
	v_mul_f16_e32 v3, 0xbb00, v10
	v_add_f16_e32 v21, v12, v21
	v_add_f16_e32 v14, v16, v14
	v_mul_f16_e32 v22, 0xbb00, v4
	v_fmamk_f16 v23, v5, 0xb574, v6
	v_fmamk_f16 v9, v9, 0x3a52, v15
	v_fmamk_f16 v20, v20, 0x3a52, v18
	v_fmamk_f16 v25, v24, 0xb574, v19
	v_fma_f16 v3, v5, 0x3574, -v3
	v_fma_f16 v5, v11, 0xb9e0, -v8
	;; [unrolled: 1-line block ×5, first 2 shown]
	v_fmamk_f16 v12, v12, 0xbcab, v21
	v_fmamk_f16 v13, v16, 0xbcab, v14
	v_fma_f16 v17, v24, 0x3574, -v22
	v_fma_f16 v11, v11, 0x39e0, -v15
	;; [unrolled: 1-line block ×3, first 2 shown]
	v_fmac_f16_e32 v23, 0xb70e, v7
	v_fmac_f16_e32 v25, 0xb70e, v2
	;; [unrolled: 1-line block ×4, first 2 shown]
	v_add_f16_e32 v7, v9, v12
	v_add_f16_e32 v9, v20, v13
	;; [unrolled: 1-line block ×3, first 2 shown]
	v_fmac_f16_e32 v17, 0xb70e, v2
	v_add_f16_e32 v8, v8, v13
	v_fmac_f16_e32 v4, 0xb70e, v2
	v_add_f16_e32 v11, v11, v12
	v_add_f16_e32 v10, v10, v13
	v_pack_b32_f16 v2, v14, v21
	v_add_f16_e32 v12, v23, v7
	v_add_f16_e32 v14, v3, v5
	v_sub_f16_e32 v3, v5, v3
	v_sub_f16_e32 v5, v7, v23
	v_add_f16_e32 v7, v25, v9
	v_sub_f16_e32 v13, v9, v25
	v_add_f16_e32 v9, v17, v8
	;; [unrolled: 2-line block ×4, first 2 shown]
	v_sub_f16_e32 v8, v8, v17
	v_pack_b32_f16 v5, v7, v5
	v_pack_b32_f16 v3, v9, v3
	;; [unrolled: 1-line block ×6, first 2 shown]
	s_clause 0x6
	global_store_b32 v[0:1], v2, off
	global_store_b32 v[0:1], v5, off offset:756
	global_store_b32 v[0:1], v3, off offset:1512
	;; [unrolled: 1-line block ×6, first 2 shown]
.LBB0_25:
	s_nop 0
	s_sendmsg sendmsg(MSG_DEALLOC_VGPRS)
	s_endpgm
	.section	.rodata,"a",@progbits
	.p2align	6, 0x0
	.amdhsa_kernel fft_rtc_back_len1323_factors_3_3_3_7_7_wgs_189_tpt_189_half_ip_CI_unitstride_sbrr_dirReg
		.amdhsa_group_segment_fixed_size 0
		.amdhsa_private_segment_fixed_size 0
		.amdhsa_kernarg_size 88
		.amdhsa_user_sgpr_count 2
		.amdhsa_user_sgpr_dispatch_ptr 0
		.amdhsa_user_sgpr_queue_ptr 0
		.amdhsa_user_sgpr_kernarg_segment_ptr 1
		.amdhsa_user_sgpr_dispatch_id 0
		.amdhsa_user_sgpr_private_segment_size 0
		.amdhsa_wavefront_size32 1
		.amdhsa_uses_dynamic_stack 0
		.amdhsa_enable_private_segment 0
		.amdhsa_system_sgpr_workgroup_id_x 1
		.amdhsa_system_sgpr_workgroup_id_y 0
		.amdhsa_system_sgpr_workgroup_id_z 0
		.amdhsa_system_sgpr_workgroup_info 0
		.amdhsa_system_vgpr_workitem_id 0
		.amdhsa_next_free_vgpr 46
		.amdhsa_next_free_sgpr 32
		.amdhsa_reserve_vcc 1
		.amdhsa_float_round_mode_32 0
		.amdhsa_float_round_mode_16_64 0
		.amdhsa_float_denorm_mode_32 3
		.amdhsa_float_denorm_mode_16_64 3
		.amdhsa_fp16_overflow 0
		.amdhsa_workgroup_processor_mode 1
		.amdhsa_memory_ordered 1
		.amdhsa_forward_progress 0
		.amdhsa_round_robin_scheduling 0
		.amdhsa_exception_fp_ieee_invalid_op 0
		.amdhsa_exception_fp_denorm_src 0
		.amdhsa_exception_fp_ieee_div_zero 0
		.amdhsa_exception_fp_ieee_overflow 0
		.amdhsa_exception_fp_ieee_underflow 0
		.amdhsa_exception_fp_ieee_inexact 0
		.amdhsa_exception_int_div_zero 0
	.end_amdhsa_kernel
	.text
.Lfunc_end0:
	.size	fft_rtc_back_len1323_factors_3_3_3_7_7_wgs_189_tpt_189_half_ip_CI_unitstride_sbrr_dirReg, .Lfunc_end0-fft_rtc_back_len1323_factors_3_3_3_7_7_wgs_189_tpt_189_half_ip_CI_unitstride_sbrr_dirReg
                                        ; -- End function
	.section	.AMDGPU.csdata,"",@progbits
; Kernel info:
; codeLenInByte = 5892
; NumSgprs: 34
; NumVgprs: 46
; ScratchSize: 0
; MemoryBound: 0
; FloatMode: 240
; IeeeMode: 1
; LDSByteSize: 0 bytes/workgroup (compile time only)
; SGPRBlocks: 4
; VGPRBlocks: 5
; NumSGPRsForWavesPerEU: 34
; NumVGPRsForWavesPerEU: 46
; Occupancy: 15
; WaveLimiterHint : 1
; COMPUTE_PGM_RSRC2:SCRATCH_EN: 0
; COMPUTE_PGM_RSRC2:USER_SGPR: 2
; COMPUTE_PGM_RSRC2:TRAP_HANDLER: 0
; COMPUTE_PGM_RSRC2:TGID_X_EN: 1
; COMPUTE_PGM_RSRC2:TGID_Y_EN: 0
; COMPUTE_PGM_RSRC2:TGID_Z_EN: 0
; COMPUTE_PGM_RSRC2:TIDIG_COMP_CNT: 0
	.text
	.p2alignl 7, 3214868480
	.fill 96, 4, 3214868480
	.type	__hip_cuid_877c441ade3c9a0a,@object ; @__hip_cuid_877c441ade3c9a0a
	.section	.bss,"aw",@nobits
	.globl	__hip_cuid_877c441ade3c9a0a
__hip_cuid_877c441ade3c9a0a:
	.byte	0                               ; 0x0
	.size	__hip_cuid_877c441ade3c9a0a, 1

	.ident	"AMD clang version 19.0.0git (https://github.com/RadeonOpenCompute/llvm-project roc-6.4.0 25133 c7fe45cf4b819c5991fe208aaa96edf142730f1d)"
	.section	".note.GNU-stack","",@progbits
	.addrsig
	.addrsig_sym __hip_cuid_877c441ade3c9a0a
	.amdgpu_metadata
---
amdhsa.kernels:
  - .args:
      - .actual_access:  read_only
        .address_space:  global
        .offset:         0
        .size:           8
        .value_kind:     global_buffer
      - .offset:         8
        .size:           8
        .value_kind:     by_value
      - .actual_access:  read_only
        .address_space:  global
        .offset:         16
        .size:           8
        .value_kind:     global_buffer
      - .actual_access:  read_only
        .address_space:  global
        .offset:         24
        .size:           8
        .value_kind:     global_buffer
      - .offset:         32
        .size:           8
        .value_kind:     by_value
      - .actual_access:  read_only
        .address_space:  global
        .offset:         40
        .size:           8
        .value_kind:     global_buffer
      - .actual_access:  read_only
        .address_space:  global
        .offset:         48
        .size:           8
        .value_kind:     global_buffer
      - .offset:         56
        .size:           4
        .value_kind:     by_value
      - .actual_access:  read_only
        .address_space:  global
        .offset:         64
        .size:           8
        .value_kind:     global_buffer
      - .actual_access:  read_only
        .address_space:  global
        .offset:         72
        .size:           8
        .value_kind:     global_buffer
      - .address_space:  global
        .offset:         80
        .size:           8
        .value_kind:     global_buffer
    .group_segment_fixed_size: 0
    .kernarg_segment_align: 8
    .kernarg_segment_size: 88
    .language:       OpenCL C
    .language_version:
      - 2
      - 0
    .max_flat_workgroup_size: 189
    .name:           fft_rtc_back_len1323_factors_3_3_3_7_7_wgs_189_tpt_189_half_ip_CI_unitstride_sbrr_dirReg
    .private_segment_fixed_size: 0
    .sgpr_count:     34
    .sgpr_spill_count: 0
    .symbol:         fft_rtc_back_len1323_factors_3_3_3_7_7_wgs_189_tpt_189_half_ip_CI_unitstride_sbrr_dirReg.kd
    .uniform_work_group_size: 1
    .uses_dynamic_stack: false
    .vgpr_count:     46
    .vgpr_spill_count: 0
    .wavefront_size: 32
    .workgroup_processor_mode: 1
amdhsa.target:   amdgcn-amd-amdhsa--gfx1201
amdhsa.version:
  - 1
  - 2
...

	.end_amdgpu_metadata
